;; amdgpu-corpus repo=ROCm/rocFFT kind=compiled arch=gfx1201 opt=O3
	.text
	.amdgcn_target "amdgcn-amd-amdhsa--gfx1201"
	.amdhsa_code_object_version 6
	.protected	fft_rtc_back_len100_factors_10_10_wgs_100_tpt_10_dp_op_CI_CI_sbcr_dirReg ; -- Begin function fft_rtc_back_len100_factors_10_10_wgs_100_tpt_10_dp_op_CI_CI_sbcr_dirReg
	.globl	fft_rtc_back_len100_factors_10_10_wgs_100_tpt_10_dp_op_CI_CI_sbcr_dirReg
	.p2align	8
	.type	fft_rtc_back_len100_factors_10_10_wgs_100_tpt_10_dp_op_CI_CI_sbcr_dirReg,@function
fft_rtc_back_len100_factors_10_10_wgs_100_tpt_10_dp_op_CI_CI_sbcr_dirReg: ; @fft_rtc_back_len100_factors_10_10_wgs_100_tpt_10_dp_op_CI_CI_sbcr_dirReg
; %bb.0:
	s_clause 0x1
	s_load_b128 s[16:19], s[0:1], 0x10
	s_load_b64 s[28:29], s[0:1], 0x20
	s_mov_b32 s3, 0
	s_mov_b32 s4, 0x99986000
	s_movk_i32 s5, 0x59
	s_mov_b32 s2, s3
	s_mov_b64 s[26:27], 0
	s_add_nc_u64 s[4:5], s[2:3], s[4:5]
	s_delay_alu instid0(SALU_CYCLE_1) | instskip(NEXT) | instid1(SALU_CYCLE_1)
	s_add_co_i32 s5, s5, 0x19999940
	s_mul_u64 s[6:7], s[4:5], -10
	s_delay_alu instid0(SALU_CYCLE_1)
	s_mul_hi_u32 s9, s4, s7
	s_mul_i32 s8, s4, s7
	s_mul_hi_u32 s2, s4, s6
	s_mul_i32 s11, s5, s6
	s_add_nc_u64 s[8:9], s[2:3], s[8:9]
	s_mul_hi_u32 s10, s5, s6
	s_mul_hi_u32 s12, s5, s7
	s_wait_kmcnt 0x0
	s_load_b64 s[20:21], s[16:17], 0x8
	s_add_co_u32 s2, s8, s11
	s_add_co_ci_u32 s2, s9, s10
	s_mul_i32 s6, s5, s7
	s_add_co_ci_u32 s7, s12, 0
	s_delay_alu instid0(SALU_CYCLE_1) | instskip(NEXT) | instid1(SALU_CYCLE_1)
	s_add_nc_u64 s[6:7], s[2:3], s[6:7]
	v_add_co_u32 v1, s2, s4, s6
	s_delay_alu instid0(VALU_DEP_1) | instskip(SKIP_1) | instid1(VALU_DEP_1)
	s_cmp_lg_u32 s2, 0
	s_add_co_ci_u32 s8, s5, s7
	v_readfirstlane_b32 s9, v1
	s_wait_kmcnt 0x0
	s_add_nc_u64 s[4:5], s[20:21], -1
	s_wait_alu 0xfffe
	s_mul_hi_u32 s7, s4, s8
	s_mul_i32 s6, s4, s8
	s_mul_hi_u32 s2, s4, s9
	s_mul_hi_u32 s11, s5, s9
	s_mul_i32 s9, s5, s9
	s_wait_alu 0xfffe
	s_add_nc_u64 s[6:7], s[2:3], s[6:7]
	s_mul_hi_u32 s10, s5, s8
	s_wait_alu 0xfffe
	s_add_co_u32 s2, s6, s9
	s_add_co_ci_u32 s2, s7, s11
	s_mul_i32 s8, s5, s8
	s_add_co_ci_u32 s9, s10, 0
	s_delay_alu instid0(SALU_CYCLE_1) | instskip(SKIP_2) | instid1(SALU_CYCLE_1)
	s_add_nc_u64 s[6:7], s[2:3], s[8:9]
	s_wait_alu 0xfffe
	s_mul_u64 s[8:9], s[6:7], 10
	v_sub_co_u32 v1, s2, s4, s8
	s_delay_alu instid0(VALU_DEP_1) | instskip(SKIP_1) | instid1(VALU_DEP_1)
	s_cmp_lg_u32 s2, 0
	s_sub_co_ci_u32 s10, s5, s9
	v_sub_co_u32 v2, s4, v1, 10
	s_delay_alu instid0(VALU_DEP_1) | instskip(SKIP_2) | instid1(VALU_DEP_2)
	s_cmp_lg_u32 s4, 0
	v_readfirstlane_b32 s11, v1
	s_sub_co_ci_u32 s8, s10, 0
	v_readfirstlane_b32 s2, v2
	s_add_nc_u64 s[4:5], s[6:7], 1
	s_delay_alu instid0(VALU_DEP_1)
	s_cmp_gt_u32 s2, 9
	s_cselect_b32 s2, -1, 0
	s_wait_alu 0xfffe
	s_cmp_eq_u32 s8, 0
	s_add_nc_u64 s[8:9], s[6:7], 2
	s_cselect_b32 s2, s2, -1
	s_delay_alu instid0(SALU_CYCLE_1)
	s_cmp_lg_u32 s2, 0
	s_wait_alu 0xfffe
	s_cselect_b32 s2, s8, s4
	s_cselect_b32 s4, s9, s5
	s_cmp_gt_u32 s11, 9
	s_cselect_b32 s5, -1, 0
	s_cmp_eq_u32 s10, 0
	s_wait_alu 0xfffe
	s_cselect_b32 s5, s5, -1
	s_wait_alu 0xfffe
	s_cmp_lg_u32 s5, 0
	s_cselect_b32 s5, s4, s7
	s_cselect_b32 s4, s2, s6
	s_mov_b32 s2, ttmp9
	s_wait_alu 0xfffe
	s_add_nc_u64 s[34:35], s[4:5], 1
	s_delay_alu instid0(SALU_CYCLE_1) | instskip(NEXT) | instid1(VALU_DEP_1)
	v_cmp_lt_u64_e64 s4, s[2:3], s[34:35]
	s_and_b32 vcc_lo, exec_lo, s4
	s_cbranch_vccnz .LBB0_2
; %bb.1:
	v_cvt_f32_u32_e32 v1, s34
	s_sub_co_i32 s5, 0, s34
	s_mov_b32 s27, s3
	s_delay_alu instid0(VALU_DEP_1) | instskip(NEXT) | instid1(TRANS32_DEP_1)
	v_rcp_iflag_f32_e32 v1, v1
	v_mul_f32_e32 v1, 0x4f7ffffe, v1
	s_delay_alu instid0(VALU_DEP_1) | instskip(NEXT) | instid1(VALU_DEP_1)
	v_cvt_u32_f32_e32 v1, v1
	v_readfirstlane_b32 s4, v1
	s_wait_alu 0xfffe
	s_delay_alu instid0(VALU_DEP_1)
	s_mul_i32 s5, s5, s4
	s_wait_alu 0xfffe
	s_mul_hi_u32 s5, s4, s5
	s_wait_alu 0xfffe
	s_add_co_i32 s4, s4, s5
	s_wait_alu 0xfffe
	s_mul_hi_u32 s4, s2, s4
	s_wait_alu 0xfffe
	s_mul_i32 s5, s4, s34
	s_add_co_i32 s6, s4, 1
	s_wait_alu 0xfffe
	s_sub_co_i32 s5, s2, s5
	s_wait_alu 0xfffe
	s_sub_co_i32 s7, s5, s34
	s_cmp_ge_u32 s5, s34
	s_cselect_b32 s4, s6, s4
	s_wait_alu 0xfffe
	s_cselect_b32 s5, s7, s5
	s_add_co_i32 s6, s4, 1
	s_wait_alu 0xfffe
	s_cmp_ge_u32 s5, s34
	s_cselect_b32 s26, s6, s4
.LBB0_2:
	s_load_b128 s[8:11], s[0:1], 0x0
	s_load_b128 s[12:15], s[18:19], 0x0
	;; [unrolled: 1-line block ×3, first 2 shown]
	s_mul_u64 s[22:23], s[26:27], s[34:35]
	s_delay_alu instid0(SALU_CYCLE_1) | instskip(NEXT) | instid1(SALU_CYCLE_1)
	s_sub_nc_u64 s[22:23], s[2:3], s[22:23]
	s_mul_u64 s[22:23], s[22:23], 10
	s_wait_kmcnt 0x0
	v_cmp_lt_u64_e64 s24, s[10:11], 3
	s_mul_u64 s[30:31], s[14:15], s[22:23]
	s_delay_alu instid0(VALU_DEP_1)
	s_and_b32 vcc_lo, exec_lo, s24
	s_mul_u64 s[24:25], s[6:7], s[22:23]
	s_cbranch_vccnz .LBB0_12
; %bb.3:
	s_add_nc_u64 s[36:37], s[28:29], 16
	s_add_nc_u64 s[38:39], s[18:19], 16
	;; [unrolled: 1-line block ×3, first 2 shown]
	s_mov_b64 s[40:41], 2
	s_mov_b32 s42, 0
.LBB0_4:                                ; =>This Inner Loop Header: Depth=1
	s_load_b64 s[44:45], s[16:17], 0x0
                                        ; implicit-def: $sgpr48_sgpr49
	s_wait_kmcnt 0x0
	s_or_b64 s[46:47], s[26:27], s[44:45]
	s_delay_alu instid0(SALU_CYCLE_1)
	s_mov_b32 s43, s47
	s_mov_b32 s47, -1
	s_cmp_lg_u64 s[42:43], 0
	s_cbranch_scc0 .LBB0_6
; %bb.5:                                ;   in Loop: Header=BB0_4 Depth=1
	s_cvt_f32_u32 s33, s44
	s_cvt_f32_u32 s43, s45
	s_sub_nc_u64 s[50:51], 0, s[44:45]
	s_mov_b32 s47, 0
	s_mov_b32 s55, s42
	s_wait_alu 0xfffe
	s_fmamk_f32 s33, s43, 0x4f800000, s33
	s_wait_alu 0xfffe
	s_delay_alu instid0(SALU_CYCLE_2) | instskip(NEXT) | instid1(TRANS32_DEP_1)
	v_s_rcp_f32 s33, s33
	s_mul_f32 s33, s33, 0x5f7ffffc
	s_wait_alu 0xfffe
	s_delay_alu instid0(SALU_CYCLE_2) | instskip(NEXT) | instid1(SALU_CYCLE_3)
	s_mul_f32 s43, s33, 0x2f800000
	s_trunc_f32 s43, s43
	s_delay_alu instid0(SALU_CYCLE_3) | instskip(SKIP_2) | instid1(SALU_CYCLE_1)
	s_fmamk_f32 s33, s43, 0xcf800000, s33
	s_cvt_u32_f32 s49, s43
	s_wait_alu 0xfffe
	s_cvt_u32_f32 s48, s33
	s_wait_alu 0xfffe
	s_delay_alu instid0(SALU_CYCLE_2)
	s_mul_u64 s[52:53], s[50:51], s[48:49]
	s_wait_alu 0xfffe
	s_mul_hi_u32 s57, s48, s53
	s_mul_i32 s56, s48, s53
	s_mul_hi_u32 s46, s48, s52
	s_mul_i32 s43, s49, s52
	s_add_nc_u64 s[56:57], s[46:47], s[56:57]
	s_mul_hi_u32 s33, s49, s52
	s_mul_hi_u32 s58, s49, s53
	s_add_co_u32 s43, s56, s43
	s_wait_alu 0xfffe
	s_add_co_ci_u32 s54, s57, s33
	s_mul_i32 s52, s49, s53
	s_add_co_ci_u32 s53, s58, 0
	s_wait_alu 0xfffe
	s_add_nc_u64 s[52:53], s[54:55], s[52:53]
	s_wait_alu 0xfffe
	v_add_co_u32 v1, s33, s48, s52
	s_delay_alu instid0(VALU_DEP_1) | instskip(SKIP_1) | instid1(VALU_DEP_1)
	s_cmp_lg_u32 s33, 0
	s_add_co_ci_u32 s49, s49, s53
	v_readfirstlane_b32 s48, v1
	s_mov_b32 s53, s42
	s_wait_alu 0xfffe
	s_delay_alu instid0(VALU_DEP_1)
	s_mul_u64 s[50:51], s[50:51], s[48:49]
	s_wait_alu 0xfffe
	s_mul_hi_u32 s55, s48, s51
	s_mul_i32 s54, s48, s51
	s_mul_hi_u32 s46, s48, s50
	s_mul_i32 s43, s49, s50
	s_add_nc_u64 s[54:55], s[46:47], s[54:55]
	s_mul_hi_u32 s33, s49, s50
	s_mul_hi_u32 s48, s49, s51
	s_add_co_u32 s43, s54, s43
	s_wait_alu 0xfffe
	s_add_co_ci_u32 s52, s55, s33
	s_mul_i32 s50, s49, s51
	s_add_co_ci_u32 s51, s48, 0
	s_wait_alu 0xfffe
	s_add_nc_u64 s[50:51], s[52:53], s[50:51]
	s_wait_alu 0xfffe
	v_add_co_u32 v1, s33, v1, s50
	s_delay_alu instid0(VALU_DEP_1) | instskip(SKIP_1) | instid1(VALU_DEP_1)
	s_cmp_lg_u32 s33, 0
	s_add_co_ci_u32 s33, s49, s51
	v_readfirstlane_b32 s43, v1
	s_wait_alu 0xfffe
	s_mul_hi_u32 s49, s26, s33
	s_mul_i32 s48, s26, s33
	s_mul_hi_u32 s51, s27, s33
	s_mul_i32 s50, s27, s33
	;; [unrolled: 2-line block ×3, first 2 shown]
	s_wait_alu 0xfffe
	s_add_nc_u64 s[48:49], s[46:47], s[48:49]
	s_mul_hi_u32 s43, s27, s43
	s_wait_alu 0xfffe
	s_add_co_u32 s33, s48, s33
	s_add_co_ci_u32 s52, s49, s43
	s_add_co_ci_u32 s51, s51, 0
	s_wait_alu 0xfffe
	s_add_nc_u64 s[48:49], s[52:53], s[50:51]
	s_wait_alu 0xfffe
	s_mul_u64 s[50:51], s[44:45], s[48:49]
	s_add_nc_u64 s[52:53], s[48:49], 1
	s_wait_alu 0xfffe
	v_sub_co_u32 v1, s33, s26, s50
	s_sub_co_i32 s43, s27, s51
	s_cmp_lg_u32 s33, 0
	s_add_nc_u64 s[54:55], s[48:49], 2
	s_delay_alu instid0(VALU_DEP_1) | instskip(SKIP_2) | instid1(VALU_DEP_1)
	v_sub_co_u32 v2, s46, v1, s44
	s_sub_co_ci_u32 s43, s43, s45
	s_cmp_lg_u32 s46, 0
	v_readfirstlane_b32 s46, v2
	s_sub_co_ci_u32 s43, s43, 0
	s_delay_alu instid0(SALU_CYCLE_1) | instskip(SKIP_1) | instid1(VALU_DEP_1)
	s_cmp_ge_u32 s43, s45
	s_cselect_b32 s50, -1, 0
	s_cmp_ge_u32 s46, s44
	s_cselect_b32 s46, -1, 0
	s_cmp_eq_u32 s43, s45
	s_wait_alu 0xfffe
	s_cselect_b32 s43, s46, s50
	s_delay_alu instid0(SALU_CYCLE_1)
	s_cmp_lg_u32 s43, 0
	s_cselect_b32 s43, s54, s52
	s_cselect_b32 s46, s55, s53
	s_cmp_lg_u32 s33, 0
	v_readfirstlane_b32 s33, v1
	s_sub_co_ci_u32 s50, s27, s51
	s_wait_alu 0xfffe
	s_cmp_ge_u32 s50, s45
	s_cselect_b32 s51, -1, 0
	s_cmp_ge_u32 s33, s44
	s_cselect_b32 s33, -1, 0
	s_cmp_eq_u32 s50, s45
	s_wait_alu 0xfffe
	s_cselect_b32 s33, s33, s51
	s_wait_alu 0xfffe
	s_cmp_lg_u32 s33, 0
	s_cselect_b32 s49, s46, s49
	s_cselect_b32 s48, s43, s48
.LBB0_6:                                ;   in Loop: Header=BB0_4 Depth=1
	s_and_not1_b32 vcc_lo, exec_lo, s47
	s_cbranch_vccnz .LBB0_8
; %bb.7:                                ;   in Loop: Header=BB0_4 Depth=1
	v_cvt_f32_u32_e32 v1, s44
	s_sub_co_i32 s43, 0, s44
	s_mov_b32 s49, s42
	s_delay_alu instid0(VALU_DEP_1) | instskip(NEXT) | instid1(TRANS32_DEP_1)
	v_rcp_iflag_f32_e32 v1, v1
	v_mul_f32_e32 v1, 0x4f7ffffe, v1
	s_delay_alu instid0(VALU_DEP_1) | instskip(NEXT) | instid1(VALU_DEP_1)
	v_cvt_u32_f32_e32 v1, v1
	v_readfirstlane_b32 s33, v1
	s_delay_alu instid0(VALU_DEP_1) | instskip(NEXT) | instid1(SALU_CYCLE_1)
	s_mul_i32 s43, s43, s33
	s_mul_hi_u32 s43, s33, s43
	s_delay_alu instid0(SALU_CYCLE_1)
	s_add_co_i32 s33, s33, s43
	s_wait_alu 0xfffe
	s_mul_hi_u32 s33, s26, s33
	s_wait_alu 0xfffe
	s_mul_i32 s43, s33, s44
	s_add_co_i32 s46, s33, 1
	s_sub_co_i32 s43, s26, s43
	s_delay_alu instid0(SALU_CYCLE_1)
	s_sub_co_i32 s47, s43, s44
	s_cmp_ge_u32 s43, s44
	s_cselect_b32 s33, s46, s33
	s_cselect_b32 s43, s47, s43
	s_wait_alu 0xfffe
	s_add_co_i32 s46, s33, 1
	s_cmp_ge_u32 s43, s44
	s_cselect_b32 s48, s46, s33
.LBB0_8:                                ;   in Loop: Header=BB0_4 Depth=1
	s_load_b64 s[46:47], s[38:39], 0x0
	s_load_b64 s[50:51], s[36:37], 0x0
	s_add_nc_u64 s[40:41], s[40:41], 1
	s_mul_u64 s[34:35], s[44:45], s[34:35]
	s_wait_alu 0xfffe
	v_cmp_ge_u64_e64 s33, s[40:41], s[10:11]
	s_mul_u64 s[44:45], s[48:49], s[44:45]
	s_add_nc_u64 s[36:37], s[36:37], 8
	s_wait_alu 0xfffe
	s_sub_nc_u64 s[26:27], s[26:27], s[44:45]
	s_add_nc_u64 s[38:39], s[38:39], 8
	s_add_nc_u64 s[16:17], s[16:17], 8
	s_and_b32 vcc_lo, exec_lo, s33
	s_wait_kmcnt 0x0
	s_wait_alu 0xfffe
	s_mul_u64 s[44:45], s[46:47], s[26:27]
	s_mul_u64 s[26:27], s[50:51], s[26:27]
	s_wait_alu 0xfffe
	s_add_nc_u64 s[30:31], s[44:45], s[30:31]
	s_add_nc_u64 s[24:25], s[26:27], s[24:25]
	s_cbranch_vccnz .LBB0_10
; %bb.9:                                ;   in Loop: Header=BB0_4 Depth=1
	s_mov_b64 s[26:27], s[48:49]
	s_branch .LBB0_4
.LBB0_10:
	v_cmp_lt_u64_e64 s3, s[2:3], s[34:35]
	s_mov_b64 s[26:27], 0
	s_delay_alu instid0(VALU_DEP_1)
	s_and_b32 vcc_lo, exec_lo, s3
	s_cbranch_vccnz .LBB0_12
; %bb.11:
	v_cvt_f32_u32_e32 v1, s34
	s_sub_co_i32 s16, 0, s34
	s_mov_b32 s27, 0
	s_delay_alu instid0(VALU_DEP_1) | instskip(NEXT) | instid1(TRANS32_DEP_1)
	v_rcp_iflag_f32_e32 v1, v1
	v_mul_f32_e32 v1, 0x4f7ffffe, v1
	s_delay_alu instid0(VALU_DEP_1) | instskip(NEXT) | instid1(VALU_DEP_1)
	v_cvt_u32_f32_e32 v1, v1
	v_readfirstlane_b32 s3, v1
	s_delay_alu instid0(VALU_DEP_1) | instskip(NEXT) | instid1(SALU_CYCLE_1)
	s_mul_i32 s16, s16, s3
	s_mul_hi_u32 s16, s3, s16
	s_delay_alu instid0(SALU_CYCLE_1) | instskip(SKIP_4) | instid1(SALU_CYCLE_1)
	s_add_co_i32 s3, s3, s16
	s_wait_alu 0xfffe
	s_mul_hi_u32 s3, s2, s3
	s_wait_alu 0xfffe
	s_mul_i32 s16, s3, s34
	s_sub_co_i32 s2, s2, s16
	s_add_co_i32 s16, s3, 1
	s_wait_alu 0xfffe
	s_sub_co_i32 s17, s2, s34
	s_cmp_ge_u32 s2, s34
	s_cselect_b32 s3, s16, s3
	s_cselect_b32 s2, s17, s2
	s_wait_alu 0xfffe
	s_add_co_i32 s16, s3, 1
	s_cmp_ge_u32 s2, s34
	s_cselect_b32 s26, s16, s3
.LBB0_12:
	v_mul_u32_u24_e32 v1, 0x199a, v0
	s_lshl_b64 s[16:17], s[10:11], 3
	s_load_b128 s[0:3], s[0:1], 0x58
	s_add_nc_u64 s[10:11], s[28:29], s[16:17]
                                        ; implicit-def: $vgpr11_vgpr12
                                        ; implicit-def: $vgpr15_vgpr16
                                        ; implicit-def: $vgpr23_vgpr24
                                        ; implicit-def: $vgpr27_vgpr28
                                        ; implicit-def: $vgpr35_vgpr36
                                        ; implicit-def: $vgpr39_vgpr40
                                        ; implicit-def: $vgpr31_vgpr32
                                        ; implicit-def: $vgpr19_vgpr20
                                        ; implicit-def: $vgpr7_vgpr8
                                        ; implicit-def: $vgpr3_vgpr4
	s_load_b64 s[10:11], s[10:11], 0x0
	v_lshrrev_b32_e32 v41, 16, v1
	s_delay_alu instid0(VALU_DEP_1) | instskip(NEXT) | instid1(VALU_DEP_1)
	v_mul_lo_u16 v1, v41, 10
	v_sub_nc_u16 v1, v0, v1
	s_delay_alu instid0(VALU_DEP_1) | instskip(NEXT) | instid1(VALU_DEP_1)
	v_and_b32_e32 v42, 0xffff, v1
	v_add_co_u32 v1, s28, s22, v42
	s_delay_alu instid0(VALU_DEP_1) | instskip(SKIP_3) | instid1(VALU_DEP_2)
	v_add_co_ci_u32_e64 v2, null, s23, 0, s28
	s_add_nc_u64 s[28:29], s[22:23], 10
	s_wait_alu 0xfffe
	v_cmp_le_u64_e64 s34, s[28:29], s[20:21]
	v_cmp_gt_u64_e32 vcc_lo, s[20:21], v[1:2]
	v_cmp_gt_u64_e64 s33, s[28:29], s[20:21]
                                        ; kill: def $vgpr1_vgpr2 killed $sgpr0_sgpr1 killed $exec
	s_delay_alu instid0(VALU_DEP_3)
	s_or_b32 s29, s34, vcc_lo
	s_wait_alu 0xfffe
	s_and_saveexec_b32 s28, s29
	s_cbranch_execz .LBB0_14
; %bb.13:
	v_mad_co_u64_u32 v[1:2], null, s14, v42, 0
	v_mad_co_u64_u32 v[3:4], null, s12, v41, 0
	s_add_nc_u64 s[16:17], s[18:19], s[16:17]
	s_lshl_b64 s[18:19], s[30:31], 4
	s_load_b64 s[16:17], s[16:17], 0x0
	v_add_nc_u32_e32 v19, 50, v41
	v_add_nc_u32_e32 v26, 60, v41
	;; [unrolled: 1-line block ×3, first 2 shown]
	s_delay_alu instid0(VALU_DEP_4) | instskip(SKIP_3) | instid1(VALU_DEP_4)
	v_mad_co_u64_u32 v[5:6], null, s15, v42, v[2:3]
	v_add_nc_u32_e32 v11, 10, v41
	v_mad_co_u64_u32 v[15:16], null, s12, v19, 0
	v_mad_co_u64_u32 v[21:22], null, s12, v26, 0
	v_mov_b32_e32 v2, v5
	v_mad_co_u64_u32 v[8:9], null, s13, v41, v[4:5]
	v_add_nc_u32_e32 v13, 20, v41
	v_mad_co_u64_u32 v[6:7], null, s12, v11, 0
	v_add_nc_u32_e32 v14, 30, v41
	v_lshlrev_b64_e32 v[1:2], 4, v[1:2]
	s_wait_kmcnt 0x0
	s_mul_u64 s[14:15], s[16:17], s[26:27]
	v_mov_b32_e32 v4, v8
	v_mad_co_u64_u32 v[9:10], null, s12, v13, 0
	v_mov_b32_e32 v5, v7
	s_wait_alu 0xfffe
	s_lshl_b64 s[14:15], s[14:15], 4
	s_wait_alu 0xfffe
	s_add_nc_u64 s[0:1], s[0:1], s[14:15]
	v_mad_co_u64_u32 v[7:8], null, s13, v11, v[5:6]
	v_mad_co_u64_u32 v[11:12], null, s12, v14, 0
	v_mov_b32_e32 v5, v10
	s_add_nc_u64 s[0:1], s[0:1], s[18:19]
	s_delay_alu instid0(SALU_CYCLE_1)
	v_add_co_u32 v28, vcc_lo, s0, v1
	v_add_co_ci_u32_e32 v35, vcc_lo, s1, v2, vcc_lo
	v_lshlrev_b64_e32 v[1:2], 4, v[3:4]
	v_mad_co_u64_u32 v[3:4], null, s13, v13, v[5:6]
	v_mov_b32_e32 v4, v12
	v_lshlrev_b64_e32 v[5:6], 4, v[6:7]
	s_delay_alu instid0(VALU_DEP_4) | instskip(SKIP_3) | instid1(VALU_DEP_4)
	v_add_co_u32 v1, vcc_lo, v28, v1
	s_wait_alu 0xfffd
	v_add_co_ci_u32_e32 v2, vcc_lo, v35, v2, vcc_lo
	v_mov_b32_e32 v10, v3
	v_mad_co_u64_u32 v[12:13], null, s13, v14, v[4:5]
	v_mad_co_u64_u32 v[13:14], null, s12, v17, 0
	s_delay_alu instid0(VALU_DEP_3)
	v_lshlrev_b64_e32 v[9:10], 4, v[9:10]
	v_add_co_u32 v5, vcc_lo, v28, v5
	s_wait_alu 0xfffd
	v_add_co_ci_u32_e32 v6, vcc_lo, v35, v6, vcc_lo
	v_lshlrev_b64_e32 v[11:12], 4, v[11:12]
	v_mad_co_u64_u32 v[17:18], null, s13, v17, v[14:15]
	v_mov_b32_e32 v14, v16
	v_add_co_u32 v9, vcc_lo, v28, v9
	s_wait_alu 0xfffd
	v_add_co_ci_u32_e32 v10, vcc_lo, v35, v10, vcc_lo
	v_add_co_u32 v11, vcc_lo, v28, v11
	v_mad_co_u64_u32 v[23:24], null, s13, v19, v[14:15]
	v_dual_mov_b32 v14, v17 :: v_dual_add_nc_u32 v27, 0x46, v41
	s_wait_alu 0xfffd
	v_add_co_ci_u32_e32 v12, vcc_lo, v35, v12, vcc_lo
	s_clause 0x1
	global_load_b128 v[1:4], v[1:2], off
	global_load_b128 v[5:8], v[5:6], off
	v_mad_co_u64_u32 v[24:25], null, s12, v27, 0
	s_clause 0x1
	global_load_b128 v[17:20], v[9:10], off
	global_load_b128 v[29:32], v[11:12], off
	v_lshlrev_b64_e32 v[10:11], 4, v[13:14]
	v_dual_mov_b32 v9, v22 :: v_dual_mov_b32 v16, v23
	v_or_b32_e32 v23, 0x50, v41
	s_delay_alu instid0(VALU_DEP_2) | instskip(SKIP_1) | instid1(VALU_DEP_3)
	v_mad_co_u64_u32 v[12:13], null, s13, v26, v[9:10]
	v_mov_b32_e32 v9, v25
	v_mad_co_u64_u32 v[13:14], null, s12, v23, 0
	v_add_nc_u32_e32 v36, 0x5a, v41
	s_delay_alu instid0(VALU_DEP_3)
	v_mad_co_u64_u32 v[25:26], null, s13, v27, v[9:10]
	v_add_co_u32 v9, vcc_lo, v28, v10
	s_wait_alu 0xfffd
	v_add_co_ci_u32_e32 v10, vcc_lo, v35, v11, vcc_lo
	v_mov_b32_e32 v11, v14
	v_mad_co_u64_u32 v[26:27], null, s12, v36, 0
	v_lshlrev_b64_e32 v[14:15], 4, v[15:16]
	v_mov_b32_e32 v22, v12
	s_delay_alu instid0(VALU_DEP_4) | instskip(NEXT) | instid1(VALU_DEP_4)
	v_mad_co_u64_u32 v[11:12], null, s13, v23, v[11:12]
	v_mov_b32_e32 v12, v27
	s_delay_alu instid0(VALU_DEP_4)
	v_add_co_u32 v33, vcc_lo, v28, v14
	s_wait_alu 0xfffd
	v_add_co_ci_u32_e32 v34, vcc_lo, v35, v15, vcc_lo
	v_lshlrev_b64_e32 v[15:16], 4, v[21:22]
	v_mad_co_u64_u32 v[21:22], null, s13, v36, v[12:13]
	v_mov_b32_e32 v14, v11
	v_lshlrev_b64_e32 v[22:23], 4, v[24:25]
	s_delay_alu instid0(VALU_DEP_4) | instskip(NEXT) | instid1(VALU_DEP_3)
	v_add_co_u32 v11, vcc_lo, v28, v15
	v_lshlrev_b64_e32 v[13:14], 4, v[13:14]
	v_mov_b32_e32 v27, v21
	s_wait_alu 0xfffd
	v_add_co_ci_u32_e32 v12, vcc_lo, v35, v16, vcc_lo
	v_add_co_u32 v15, vcc_lo, v28, v22
	s_delay_alu instid0(VALU_DEP_3)
	v_lshlrev_b64_e32 v[21:22], 4, v[26:27]
	s_wait_alu 0xfffd
	v_add_co_ci_u32_e32 v16, vcc_lo, v35, v23, vcc_lo
	v_add_co_u32 v13, vcc_lo, v28, v13
	s_wait_alu 0xfffd
	v_add_co_ci_u32_e32 v14, vcc_lo, v35, v14, vcc_lo
	v_add_co_u32 v43, vcc_lo, v28, v21
	s_wait_alu 0xfffd
	v_add_co_ci_u32_e32 v44, vcc_lo, v35, v22, vcc_lo
	s_clause 0x5
	global_load_b128 v[37:40], v[9:10], off
	global_load_b128 v[33:36], v[33:34], off
	global_load_b128 v[25:28], v[11:12], off
	global_load_b128 v[21:24], v[15:16], off
	global_load_b128 v[13:16], v[13:14], off
	global_load_b128 v[9:12], v[43:44], off
.LBB0_14:
	s_wait_alu 0xfffe
	s_or_b32 exec_lo, exec_lo, s28
	s_wait_loadcnt 0x2
	v_add_f64_e32 v[43:44], v[23:24], v[35:36]
	s_wait_loadcnt 0x0
	v_add_f64_e32 v[45:46], v[11:12], v[31:32]
	v_add_f64_e32 v[47:48], v[21:22], v[33:34]
	;; [unrolled: 1-line block ×3, first 2 shown]
	v_add_f64_e64 v[51:52], v[29:30], -v[9:10]
	v_add_f64_e64 v[53:54], v[33:34], -v[21:22]
	;; [unrolled: 1-line block ×4, first 2 shown]
	s_mov_b32 s14, 0x134454ff
	s_mov_b32 s15, 0xbfee6f0e
	s_wait_kmcnt 0x0
	s_mov_b32 s1, 0x3fee6f0e
	s_wait_alu 0xfffe
	s_mov_b32 s0, s14
	v_add_f64_e32 v[59:60], v[25:26], v[37:38]
	v_add_f64_e32 v[61:62], v[13:14], v[17:18]
	;; [unrolled: 1-line block ×4, first 2 shown]
	v_add_f64_e64 v[67:68], v[29:30], -v[33:34]
	v_add_f64_e64 v[69:70], v[9:10], -v[21:22]
	;; [unrolled: 1-line block ×6, first 2 shown]
	s_mov_b32 s16, 0x4755a5e
	s_mov_b32 s17, 0xbfe2cf23
	;; [unrolled: 1-line block ×4, first 2 shown]
	v_add_f64_e32 v[87:88], v[17:18], v[1:2]
	v_add_f64_e32 v[89:90], v[19:20], v[3:4]
	s_mov_b32 s18, 0x372fe950
	s_mov_b32 s19, 0x3fd3c6ef
	;; [unrolled: 1-line block ×7, first 2 shown]
	s_wait_alu 0xfffe
	s_mov_b32 s34, s28
	s_and_not1_b32 vcc_lo, exec_lo, s33
	v_fma_f64 v[43:44], v[43:44], -0.5, v[7:8]
	v_fma_f64 v[45:46], v[45:46], -0.5, v[7:8]
	;; [unrolled: 1-line block ×4, first 2 shown]
	v_add_f64_e32 v[5:6], v[29:30], v[5:6]
	v_add_f64_e64 v[29:30], v[33:34], -v[29:30]
	v_add_f64_e32 v[7:8], v[31:32], v[7:8]
	v_add_f64_e64 v[31:32], v[35:36], -v[31:32]
	v_fma_f64 v[59:60], v[59:60], -0.5, v[1:2]
	v_fma_f64 v[1:2], v[61:62], -0.5, v[1:2]
	;; [unrolled: 1-line block ×4, first 2 shown]
	v_add_f64_e64 v[63:64], v[19:20], -v[15:16]
	v_add_f64_e32 v[67:68], v[69:70], v[67:68]
	v_add_f64_e64 v[69:70], v[17:18], -v[13:14]
	v_add_f64_e64 v[65:66], v[39:40], -v[27:28]
	v_add_f64_e32 v[73:74], v[75:76], v[73:74]
	v_fma_f64 v[79:80], v[51:52], s[0:1], v[43:44]
	v_fma_f64 v[81:82], v[53:54], s[14:15], v[45:46]
	;; [unrolled: 1-line block ×7, first 2 shown]
	v_add_f64_e32 v[29:30], v[71:72], v[29:30]
	v_fma_f64 v[49:50], v[57:58], s[14:15], v[49:50]
	v_add_f64_e64 v[71:72], v[37:38], -v[25:26]
	v_add_f64_e32 v[31:32], v[77:78], v[31:32]
	v_add_f64_e32 v[5:6], v[33:34], v[5:6]
	v_add_f64_e32 v[7:8], v[35:36], v[7:8]
	v_fma_f64 v[33:34], v[63:64], s[14:15], v[59:60]
	v_fma_f64 v[35:36], v[63:64], s[0:1], v[59:60]
	;; [unrolled: 1-line block ×10, first 2 shown]
	v_add_f64_e64 v[79:80], v[17:18], -v[37:38]
	v_add_f64_e64 v[17:18], v[37:38], -v[17:18]
	v_add_f64_e64 v[83:84], v[19:20], -v[39:40]
	v_add_f64_e64 v[19:20], v[39:40], -v[19:20]
	v_add_f64_e32 v[37:38], v[37:38], v[87:88]
	v_add_f64_e32 v[39:40], v[39:40], v[89:90]
	v_add_f64_e64 v[81:82], v[13:14], -v[25:26]
	v_add_f64_e64 v[87:88], v[15:16], -v[27:28]
	v_fma_f64 v[47:48], v[57:58], s[12:13], v[47:48]
	v_fma_f64 v[57:58], v[69:70], s[0:1], v[61:62]
	;; [unrolled: 1-line block ×5, first 2 shown]
	v_add_f64_e64 v[85:86], v[25:26], -v[13:14]
	v_add_f64_e64 v[89:90], v[27:28], -v[15:16]
	v_fma_f64 v[3:4], v[71:72], s[0:1], v[3:4]
	v_add_f64_e32 v[5:6], v[21:22], v[5:6]
	v_add_f64_e32 v[7:8], v[23:24], v[7:8]
	v_fma_f64 v[21:22], v[65:66], s[16:17], v[33:34]
	v_fma_f64 v[23:24], v[65:66], s[12:13], v[35:36]
	;; [unrolled: 1-line block ×10, first 2 shown]
	v_add_f64_e32 v[25:26], v[25:26], v[37:38]
	v_add_f64_e32 v[27:28], v[27:28], v[39:40]
	;; [unrolled: 1-line block ×4, first 2 shown]
	v_fma_f64 v[47:48], v[67:68], s[18:19], v[47:48]
	v_fma_f64 v[35:36], v[71:72], s[12:13], v[57:58]
	;; [unrolled: 1-line block ×5, first 2 shown]
	v_add_f64_e32 v[17:18], v[85:86], v[17:18]
	v_add_f64_e32 v[19:20], v[89:90], v[19:20]
	v_fma_f64 v[3:4], v[69:70], s[16:17], v[3:4]
	v_add_f64_e32 v[9:10], v[9:10], v[5:6]
	v_add_f64_e32 v[11:12], v[11:12], v[7:8]
	v_mul_f64_e32 v[49:50], s[16:17], v[75:76]
	v_mul_f64_e32 v[55:56], s[14:15], v[77:78]
	;; [unrolled: 1-line block ×7, first 2 shown]
	s_wait_alu 0xfffe
	v_mul_f64_e32 v[43:44], s[34:35], v[43:44]
	v_add_f64_e32 v[13:14], v[13:14], v[25:26]
	v_add_f64_e32 v[15:16], v[15:16], v[27:28]
	v_fma_f64 v[27:28], v[53:54], s[18:19], v[21:22]
	v_fma_f64 v[53:54], v[53:54], s[18:19], v[23:24]
	;; [unrolled: 1-line block ×16, first 2 shown]
	v_mul_lo_u16 v61, v41, 26
	v_add_f64_e32 v[3:4], v[9:10], v[13:14]
	v_add_f64_e32 v[5:6], v[11:12], v[15:16]
	v_add_f64_e64 v[7:8], v[13:14], -v[9:10]
	v_add_f64_e64 v[9:10], v[15:16], -v[11:12]
	v_add_f64_e32 v[11:12], v[27:28], v[35:36]
	v_add_f64_e32 v[15:16], v[33:34], v[45:46]
	;; [unrolled: 1-line block ×8, first 2 shown]
	v_add_f64_e64 v[27:28], v[27:28], -v[35:36]
	v_add_f64_e64 v[29:30], v[65:66], -v[55:56]
	;; [unrolled: 1-line block ×6, first 2 shown]
	v_lshrrev_b16 v2, 8, v61
	v_add_f64_e64 v[43:44], v[53:54], -v[51:52]
	v_add_f64_e64 v[45:46], v[67:68], -v[47:48]
	v_mul_u32_u24_e32 v39, 0x640, v41
	s_delay_alu instid0(VALU_DEP_4) | instskip(NEXT) | instid1(VALU_DEP_1)
	v_mul_lo_u16 v1, v2, 10
	v_sub_nc_u16 v1, v41, v1
	s_delay_alu instid0(VALU_DEP_1) | instskip(SKIP_1) | instid1(VALU_DEP_2)
	v_mul_lo_u16 v40, v1, 9
	v_lshlrev_b32_e32 v1, 4, v42
	v_and_b32_e32 v40, 0xff, v40
	s_delay_alu instid0(VALU_DEP_2)
	v_add3_u32 v39, 0, v39, v1
	ds_store_b128 v39, v[3:6]
	ds_store_b128 v39, v[11:14] offset:160
	ds_store_b128 v39, v[15:18] offset:320
	;; [unrolled: 1-line block ×9, first 2 shown]
	v_lshlrev_b32_e32 v40, 4, v40
	global_wb scope:SCOPE_SE
	s_wait_dscnt 0x0
	s_barrier_signal -1
	s_barrier_wait -1
	global_inv scope:SCOPE_SE
	s_clause 0x8
	global_load_b128 v[3:6], v40, s[8:9] offset:32
	global_load_b128 v[7:10], v40, s[8:9] offset:64
	;; [unrolled: 1-line block ×4, first 2 shown]
	global_load_b128 v[19:22], v40, s[8:9]
	global_load_b128 v[23:26], v40, s[8:9] offset:16
	global_load_b128 v[27:30], v40, s[8:9] offset:48
	global_load_b128 v[31:34], v40, s[8:9] offset:80
	global_load_b128 v[35:38], v40, s[8:9] offset:112
	v_mad_i32_i24 v80, 0xfffffa60, v41, v39
	ds_load_b128 v[42:45], v80 offset:4800
	ds_load_b128 v[46:49], v80 offset:8000
	;; [unrolled: 1-line block ×8, first 2 shown]
	s_mul_u64 s[8:9], s[10:11], s[26:27]
	s_wait_alu 0xfffe
	s_add_nc_u64 s[8:9], s[8:9], s[24:25]
	s_wait_loadcnt_dscnt 0x807
	v_mul_f64_e32 v[39:40], v[44:45], v[5:6]
	v_mul_f64_e32 v[5:6], v[42:43], v[5:6]
	s_wait_loadcnt_dscnt 0x706
	v_mul_f64_e32 v[74:75], v[46:47], v[9:10]
	s_wait_loadcnt_dscnt 0x605
	;; [unrolled: 2-line block ×3, first 2 shown]
	v_mul_f64_e32 v[78:79], v[54:55], v[17:18]
	v_mul_f64_e32 v[9:10], v[48:49], v[9:10]
	;; [unrolled: 1-line block ×4, first 2 shown]
	v_fma_f64 v[39:40], v[42:43], v[3:4], v[39:40]
	v_fma_f64 v[42:43], v[44:45], v[3:4], -v[5:6]
	s_wait_loadcnt_dscnt 0x403
	v_mul_f64_e32 v[44:45], v[58:59], v[21:22]
	v_fma_f64 v[48:49], v[48:49], v[7:8], -v[74:75]
	v_fma_f64 v[52:53], v[52:53], v[11:12], -v[76:77]
	;; [unrolled: 1-line block ×3, first 2 shown]
	ds_load_b128 v[3:6], v80 offset:12800
	s_wait_loadcnt_dscnt 0x303
	v_mul_f64_e32 v[74:75], v[64:65], v[25:26]
	v_mul_f64_e32 v[25:26], v[62:63], v[25:26]
	v_fma_f64 v[7:8], v[46:47], v[7:8], v[9:10]
	s_wait_loadcnt_dscnt 0x202
	v_mul_f64_e32 v[9:10], v[68:69], v[29:30]
	v_mul_f64_e32 v[29:30], v[66:67], v[29:30]
	s_wait_loadcnt_dscnt 0x101
	v_mul_f64_e32 v[46:47], v[72:73], v[33:34]
	v_fma_f64 v[11:12], v[50:51], v[11:12], v[13:14]
	v_mul_f64_e32 v[13:14], v[70:71], v[33:34]
	v_mul_f64_e32 v[21:22], v[60:61], v[21:22]
	v_fma_f64 v[15:16], v[54:55], v[15:16], v[17:18]
	s_wait_loadcnt_dscnt 0x0
	v_mul_f64_e32 v[76:77], v[5:6], v[37:38]
	v_mul_f64_e32 v[33:34], v[3:4], v[37:38]
	v_fma_f64 v[17:18], v[60:61], v[19:20], -v[44:45]
	v_add_f64_e32 v[37:38], v[48:49], v[52:53]
	v_add_f64_e32 v[44:45], v[42:43], v[56:57]
	v_fma_f64 v[50:51], v[62:63], v[23:24], v[74:75]
	v_fma_f64 v[23:24], v[64:65], v[23:24], -v[25:26]
	v_add_f64_e64 v[64:65], v[42:43], -v[56:57]
	v_fma_f64 v[9:10], v[66:67], v[27:28], v[9:10]
	v_fma_f64 v[25:26], v[68:69], v[27:28], -v[29:30]
	v_fma_f64 v[27:28], v[70:71], v[31:32], v[46:47]
	v_add_f64_e64 v[46:47], v[7:8], -v[11:12]
	v_fma_f64 v[13:14], v[72:73], v[31:32], -v[13:14]
	v_fma_f64 v[19:20], v[58:59], v[19:20], v[21:22]
	v_add_f64_e32 v[21:22], v[7:8], v[11:12]
	v_add_f64_e64 v[66:67], v[48:49], -v[52:53]
	v_add_f64_e64 v[68:69], v[42:43], -v[48:49]
	;; [unrolled: 1-line block ×7, first 2 shown]
	v_fma_f64 v[29:30], v[3:4], v[35:36], v[76:77]
	v_fma_f64 v[31:32], v[5:6], v[35:36], -v[33:34]
	v_add_f64_e32 v[33:34], v[39:40], v[15:16]
	v_add_f64_e64 v[35:36], v[39:40], -v[15:16]
	ds_load_b128 v[3:6], v80
	global_wb scope:SCOPE_SE
	s_wait_dscnt 0x0
	s_barrier_signal -1
	s_barrier_wait -1
	global_inv scope:SCOPE_SE
	v_fma_f64 v[37:38], v[37:38], -0.5, v[17:18]
	v_fma_f64 v[44:45], v[44:45], -0.5, v[17:18]
	v_add_f64_e32 v[17:18], v[17:18], v[42:43]
	v_add_f64_e64 v[42:43], v[11:12], -v[15:16]
	v_add_f64_e32 v[54:55], v[9:10], v[27:28]
	v_add_f64_e32 v[80:81], v[3:4], v[50:51]
	;; [unrolled: 1-line block ×4, first 2 shown]
	v_fma_f64 v[21:22], v[21:22], -0.5, v[19:20]
	v_add_f64_e64 v[84:85], v[25:26], -v[13:14]
	v_add_f64_e32 v[68:69], v[68:69], v[70:71]
	v_add_f64_e32 v[70:71], v[72:73], v[74:75]
	v_add_f64_e64 v[74:75], v[9:10], -v[27:28]
	v_add_f64_e32 v[88:89], v[88:89], v[90:91]
	v_add_f64_e32 v[58:59], v[50:51], v[29:30]
	;; [unrolled: 1-line block ×3, first 2 shown]
	v_fma_f64 v[33:34], v[33:34], -0.5, v[19:20]
	v_add_f64_e32 v[19:20], v[19:20], v[39:40]
	v_add_f64_e64 v[82:83], v[23:24], -v[31:32]
	v_add_f64_e64 v[39:40], v[7:8], -v[39:40]
	;; [unrolled: 1-line block ×3, first 2 shown]
	v_fma_f64 v[76:77], v[35:36], s[0:1], v[37:38]
	v_fma_f64 v[78:79], v[46:47], s[14:15], v[44:45]
	;; [unrolled: 1-line block ×4, first 2 shown]
	v_add_f64_e32 v[17:18], v[17:18], v[48:49]
	v_fma_f64 v[54:55], v[54:55], -0.5, v[3:4]
	v_fma_f64 v[3:4], v[58:59], -0.5, v[3:4]
	v_fma_f64 v[58:59], v[60:61], -0.5, v[5:6]
	v_fma_f64 v[5:6], v[62:63], -0.5, v[5:6]
	v_add_f64_e64 v[60:61], v[50:51], -v[29:30]
	v_fma_f64 v[62:63], v[64:65], s[14:15], v[21:22]
	v_fma_f64 v[21:22], v[64:65], s[0:1], v[21:22]
	v_fma_f64 v[72:73], v[66:67], s[0:1], v[33:34]
	v_fma_f64 v[33:34], v[66:67], s[14:15], v[33:34]
	v_add_f64_e32 v[7:8], v[19:20], v[7:8]
	v_add_f64_e64 v[19:20], v[31:32], -v[13:14]
	v_add_f64_e32 v[39:40], v[39:40], v[42:43]
	v_fma_f64 v[76:77], v[46:47], s[12:13], v[76:77]
	v_fma_f64 v[78:79], v[35:36], s[12:13], v[78:79]
	;; [unrolled: 1-line block ×4, first 2 shown]
	v_add_f64_e64 v[44:45], v[50:51], -v[9:10]
	v_add_f64_e64 v[50:51], v[9:10], -v[50:51]
	v_add_f64_e32 v[9:10], v[80:81], v[9:10]
	v_add_f64_e64 v[80:81], v[23:24], -v[25:26]
	v_add_f64_e64 v[23:24], v[25:26], -v[23:24]
	v_add_f64_e32 v[25:26], v[86:87], v[25:26]
	v_add_f64_e64 v[46:47], v[29:30], -v[27:28]
	v_add_f64_e64 v[86:87], v[27:28], -v[29:30]
	v_fma_f64 v[42:43], v[82:83], s[14:15], v[54:55]
	v_fma_f64 v[48:49], v[82:83], s[0:1], v[54:55]
	;; [unrolled: 1-line block ×12, first 2 shown]
	v_add_f64_e32 v[7:8], v[7:8], v[11:12]
	v_add_f64_e32 v[11:12], v[17:18], v[52:53]
	v_fma_f64 v[76:77], v[68:69], s[18:19], v[76:77]
	v_fma_f64 v[78:79], v[70:71], s[18:19], v[78:79]
	;; [unrolled: 1-line block ×4, first 2 shown]
	v_add_f64_e32 v[9:10], v[9:10], v[27:28]
	v_add_f64_e32 v[19:20], v[80:81], v[19:20]
	;; [unrolled: 1-line block ×6, first 2 shown]
	v_fma_f64 v[17:18], v[84:85], s[16:17], v[42:43]
	v_fma_f64 v[25:26], v[84:85], s[12:13], v[48:49]
	;; [unrolled: 1-line block ×12, first 2 shown]
	v_add_f64_e32 v[15:16], v[7:8], v[15:16]
	v_add_f64_e32 v[11:12], v[11:12], v[56:57]
	v_mul_f64_e32 v[39:40], s[16:17], v[76:77]
	v_mul_f64_e32 v[64:65], s[28:29], v[76:77]
	;; [unrolled: 1-line block ×8, first 2 shown]
	v_add_f64_e32 v[9:10], v[9:10], v[29:30]
	v_add_f64_e32 v[13:14], v[13:14], v[31:32]
	v_fma_f64 v[29:30], v[44:45], s[18:19], v[17:18]
	v_fma_f64 v[44:45], v[44:45], s[18:19], v[25:26]
	;; [unrolled: 1-line block ×4, first 2 shown]
	v_and_b32_e32 v3, 0xffff, v0
	v_fma_f64 v[56:57], v[19:20], s[18:19], v[42:43]
	s_delay_alu instid0(VALU_DEP_2)
	v_mul_u32_u24_e32 v3, 0x290, v3
	v_fma_f64 v[50:51], v[23:24], s[18:19], v[50:51]
	v_fma_f64 v[48:49], v[19:20], s[18:19], v[48:49]
	v_fma_f64 v[68:69], v[23:24], s[18:19], v[5:6]
	v_fma_f64 v[39:40], v[52:53], s[28:29], v[39:40]
	v_fma_f64 v[52:53], v[52:53], s[12:13], v[64:65]
	v_fma_f64 v[42:43], v[54:55], s[18:19], v[58:59]
	v_fma_f64 v[54:55], v[54:55], s[0:1], v[66:67]
	v_fma_f64 v[58:59], v[33:34], s[30:31], v[60:61]
	v_fma_f64 v[60:61], v[21:22], s[34:35], v[62:63]
	v_fma_f64 v[62:63], v[33:34], s[0:1], v[35:36]
	v_fma_f64 v[64:65], v[21:22], s[12:13], v[37:38]
	v_add_f64_e32 v[4:5], v[9:10], v[15:16]
	v_add_f64_e32 v[6:7], v[13:14], v[11:12]
	v_add_f64_e64 v[8:9], v[9:10], -v[15:16]
	v_add_f64_e64 v[10:11], v[13:14], -v[11:12]
	s_mov_b32 s0, -1
	v_add_f64_e32 v[12:13], v[29:30], v[39:40]
	v_add_f64_e32 v[14:15], v[56:57], v[52:53]
	;; [unrolled: 1-line block ×8, first 2 shown]
	v_add_f64_e64 v[28:29], v[29:30], -v[39:40]
	v_add_f64_e64 v[32:33], v[31:32], -v[42:43]
	;; [unrolled: 1-line block ×8, first 2 shown]
	v_and_b32_e32 v40, 0xffff, v2
	v_lshrrev_b32_e32 v2, 16, v3
	s_delay_alu instid0(VALU_DEP_2) | instskip(NEXT) | instid1(VALU_DEP_2)
	v_mad_u32_u24 v3, 0x5a, v40, v41
	v_mul_lo_u16 v40, 0x64, v2
	s_delay_alu instid0(VALU_DEP_2) | instskip(NEXT) | instid1(VALU_DEP_2)
	v_mul_u32_u24_e32 v3, 0xa0, v3
	v_sub_nc_u16 v0, v0, v40
	s_delay_alu instid0(VALU_DEP_2) | instskip(NEXT) | instid1(VALU_DEP_2)
	v_add3_u32 v1, 0, v3, v1
	v_and_b32_e32 v3, 0xffff, v0
	ds_store_b128 v1, v[4:7]
	ds_store_b128 v1, v[12:15] offset:1600
	ds_store_b128 v1, v[16:19] offset:3200
	;; [unrolled: 1-line block ×9, first 2 shown]
	global_wb scope:SCOPE_SE
	s_wait_dscnt 0x0
	s_barrier_signal -1
	s_barrier_wait -1
	global_inv scope:SCOPE_SE
	s_cbranch_vccz .LBB0_17
; %bb.15:
	s_wait_alu 0xfffe
	s_and_not1_b32 vcc_lo, exec_lo, s0
	s_wait_alu 0xfffe
	s_cbranch_vccz .LBB0_21
.LBB0_16:
	s_nop 0
	s_sendmsg sendmsg(MSG_DEALLOC_VGPRS)
	s_endpgm
.LBB0_17:
	v_add_co_u32 v0, s0, s22, v2
	s_wait_alu 0xf1fe
	v_add_co_ci_u32_e64 v1, null, s23, 0, s0
	s_mov_b32 s1, exec_lo
	s_delay_alu instid0(VALU_DEP_1)
	v_cmpx_gt_u64_e64 s[20:21], v[0:1]
	s_cbranch_execz .LBB0_20
; %bb.18:
	v_mad_co_u64_u32 v[4:5], null, s4, v3, 0
	s_lshl_b64 s[10:11], s[8:9], 4
	s_wait_alu 0xfffe
	s_add_nc_u64 s[10:11], s[2:3], s[10:11]
	s_delay_alu instid0(VALU_DEP_1) | instskip(SKIP_1) | instid1(VALU_DEP_1)
	v_mad_co_u64_u32 v[5:6], null, s5, v3, v[5:6]
	v_mul_u32_u24_e32 v6, 0xa0, v3
	v_lshl_or_b32 v7, v2, 4, v6
	s_delay_alu instid0(VALU_DEP_3) | instskip(NEXT) | instid1(VALU_DEP_2)
	v_lshlrev_b64_e32 v[5:6], 4, v[4:5]
	v_add_nc_u32_e32 v4, 0, v7
	s_wait_alu 0xfffe
	s_delay_alu instid0(VALU_DEP_2) | instskip(SKIP_1) | instid1(VALU_DEP_3)
	v_add_co_u32 v5, vcc_lo, s10, v5
	s_wait_alu 0xfffd
	v_add_co_ci_u32_e32 v6, vcc_lo, s11, v6, vcc_lo
	s_mov_b32 s10, 0
	s_mov_b32 s11, 0
.LBB0_19:                               ; =>This Inner Loop Header: Depth=1
	s_wait_alu 0xfffe
	v_add_nc_u32_e32 v8, s11, v2
	s_add_co_i32 s11, s11, 1
	s_delay_alu instid0(VALU_DEP_1) | instskip(NEXT) | instid1(VALU_DEP_1)
	v_mad_co_u64_u32 v[11:12], null, s6, v8, 0
	v_mov_b32_e32 v7, v12
	s_delay_alu instid0(VALU_DEP_1)
	v_mad_co_u64_u32 v[12:13], null, s7, v8, v[7:8]
	ds_load_b128 v[7:10], v4
	s_wait_alu 0xfffe
	v_add_co_u32 v13, vcc_lo, v0, s11
	s_wait_alu 0xfffd
	v_add_co_ci_u32_e32 v14, vcc_lo, 0, v1, vcc_lo
	v_add_nc_u32_e32 v4, 16, v4
	v_lshlrev_b64_e32 v[11:12], 4, v[11:12]
	s_delay_alu instid0(VALU_DEP_3) | instskip(NEXT) | instid1(VALU_DEP_2)
	v_cmp_le_u64_e32 vcc_lo, s[20:21], v[13:14]
	v_add_co_u32 v11, s0, v5, v11
	s_wait_alu 0xf1ff
	s_delay_alu instid0(VALU_DEP_3)
	v_add_co_ci_u32_e64 v12, s0, v6, v12, s0
	s_or_b32 s10, vcc_lo, s10
	s_wait_dscnt 0x0
	global_store_b128 v[11:12], v[7:10], off
	s_wait_alu 0xfffe
	s_and_not1_b32 exec_lo, exec_lo, s10
	s_cbranch_execnz .LBB0_19
.LBB0_20:
	s_wait_alu 0xfffe
	s_or_b32 exec_lo, exec_lo, s1
	s_cbranch_execnz .LBB0_16
.LBB0_21:
	v_mad_co_u64_u32 v[0:1], null, s4, v3, 0
	v_add_nc_u32_e32 v8, 1, v2
	v_or_b32_e32 v15, 2, v2
	v_mul_lo_u32 v4, s6, v2
	s_lshl_b64 s[0:1], s[8:9], 4
	v_mul_lo_u32 v5, s7, v2
	v_mad_co_u64_u32 v[11:12], null, s6, v8, 0
	v_mad_co_u64_u32 v[6:7], null, s5, v3, v[1:2]
	v_add_nc_u32_e32 v16, 3, v2
	v_mad_co_u64_u32 v[19:20], null, s6, v15, 0
	v_mul_u32_u24_e32 v7, 0xa0, v3
	v_lshlrev_b32_e32 v9, 4, v2
	s_wait_alu 0xfffe
	s_add_nc_u64 s[0:1], s[2:3], s[0:1]
	v_mov_b32_e32 v1, v6
	v_mov_b32_e32 v3, v12
	v_mad_co_u64_u32 v[21:22], null, s6, v16, 0
	v_or_b32_e32 v32, 4, v2
	s_delay_alu instid0(VALU_DEP_4) | instskip(NEXT) | instid1(VALU_DEP_4)
	v_lshlrev_b64_e32 v[0:1], 4, v[0:1]
	v_mad_co_u64_u32 v[12:13], null, s7, v8, v[3:4]
	v_lshlrev_b64_e32 v[13:14], 4, v[4:5]
	s_delay_alu instid0(VALU_DEP_4) | instskip(SKIP_1) | instid1(VALU_DEP_4)
	v_mad_co_u64_u32 v[27:28], null, s6, v32, 0
	s_wait_alu 0xfffe
	v_add_co_u32 v30, vcc_lo, s0, v0
	v_mov_b32_e32 v0, v20
	v_add3_u32 v29, 0, v7, v9
	ds_load_b128 v[3:6], v29
	ds_load_b128 v[7:10], v29 offset:16
	s_wait_alu 0xfffd
	v_add_co_ci_u32_e32 v31, vcc_lo, s1, v1, vcc_lo
	v_mad_co_u64_u32 v[0:1], null, s7, v15, v[0:1]
	v_mov_b32_e32 v1, v22
	v_lshlrev_b64_e32 v[11:12], 4, v[11:12]
	v_add_co_u32 v23, vcc_lo, v30, v13
	s_wait_alu 0xfffd
	v_add_co_ci_u32_e32 v24, vcc_lo, v31, v14, vcc_lo
	v_mov_b32_e32 v20, v0
	v_mad_co_u64_u32 v[0:1], null, s7, v16, v[1:2]
	v_add_co_u32 v25, vcc_lo, v30, v11
	s_wait_alu 0xfffd
	v_add_co_ci_u32_e32 v26, vcc_lo, v31, v12, vcc_lo
	ds_load_b128 v[11:14], v29 offset:32
	ds_load_b128 v[15:18], v29 offset:48
	s_wait_dscnt 0x3
	global_store_b128 v[23:24], v[3:6], off
	v_lshlrev_b64_e32 v[3:4], 4, v[19:20]
	v_dual_mov_b32 v22, v0 :: v_dual_add_nc_u32 v23, 5, v2
	s_wait_dscnt 0x2
	global_store_b128 v[25:26], v[7:10], off
	v_mov_b32_e32 v0, v28
                                        ; kill: def $vgpr1 killed $sgpr0 killed $exec
	v_add_co_u32 v7, vcc_lo, v30, v3
	s_wait_alu 0xfffd
	v_add_co_ci_u32_e32 v8, vcc_lo, v31, v4, vcc_lo
	v_lshlrev_b64_e32 v[3:4], 4, v[21:22]
	v_mad_co_u64_u32 v[0:1], null, s7, v32, v[0:1]
	v_mad_co_u64_u32 v[19:20], null, s6, v23, 0
	v_add_nc_u32_e32 v21, 9, v2
	s_delay_alu instid0(VALU_DEP_4)
	v_add_co_u32 v9, vcc_lo, v30, v3
	s_wait_alu 0xfffd
	v_add_co_ci_u32_e32 v10, vcc_lo, v31, v4, vcc_lo
	ds_load_b128 v[3:6], v29 offset:64
	v_mov_b32_e32 v28, v0
	s_wait_dscnt 0x2
	global_store_b128 v[7:8], v[11:14], off
	v_mov_b32_e32 v0, v20
	s_wait_dscnt 0x1
	global_store_b128 v[9:10], v[15:18], off
	v_or_b32_e32 v15, 6, v2
	v_lshlrev_b64_e32 v[7:8], 4, v[27:28]
	v_mad_co_u64_u32 v[17:18], null, s6, v21, 0
	v_mad_co_u64_u32 v[0:1], null, s7, v23, v[0:1]
	s_delay_alu instid0(VALU_DEP_4) | instskip(NEXT) | instid1(VALU_DEP_4)
	v_mad_co_u64_u32 v[11:12], null, s6, v15, 0
	v_add_co_u32 v13, vcc_lo, v30, v7
	s_wait_alu 0xfffd
	v_add_co_ci_u32_e32 v14, vcc_lo, v31, v8, vcc_lo
	ds_load_b128 v[7:10], v29 offset:80
	v_mov_b32_e32 v20, v0
	v_mov_b32_e32 v0, v12
	s_wait_dscnt 0x1
	global_store_b128 v[13:14], v[3:6], off
	v_add_nc_u32_e32 v5, 7, v2
	v_or_b32_e32 v6, 8, v2
	v_lshlrev_b64_e32 v[3:4], 4, v[19:20]
	v_mad_co_u64_u32 v[0:1], null, s7, v15, v[0:1]
	s_delay_alu instid0(VALU_DEP_4) | instskip(NEXT) | instid1(VALU_DEP_4)
	v_mad_co_u64_u32 v[13:14], null, s6, v5, 0
	v_mad_co_u64_u32 v[15:16], null, s6, v6, 0
	s_delay_alu instid0(VALU_DEP_4) | instskip(SKIP_3) | instid1(VALU_DEP_4)
	v_add_co_u32 v3, vcc_lo, v30, v3
	s_wait_alu 0xfffd
	v_add_co_ci_u32_e32 v4, vcc_lo, v31, v4, vcc_lo
	v_mov_b32_e32 v12, v0
	v_dual_mov_b32 v0, v14 :: v_dual_mov_b32 v1, v16
	s_wait_dscnt 0x0
	global_store_b128 v[3:4], v[7:10], off
	v_lshlrev_b64_e32 v[2:3], 4, v[11:12]
	v_mad_co_u64_u32 v[4:5], null, s7, v5, v[0:1]
	s_delay_alu instid0(VALU_DEP_2) | instskip(SKIP_2) | instid1(VALU_DEP_4)
	v_mad_co_u64_u32 v[0:1], null, s7, v6, v[1:2]
	v_mov_b32_e32 v1, v18
	v_add_co_u32 v19, vcc_lo, v30, v2
	v_mov_b32_e32 v14, v4
	s_wait_alu 0xfffd
	v_add_co_ci_u32_e32 v20, vcc_lo, v31, v3, vcc_lo
	v_mov_b32_e32 v16, v0
	v_mad_co_u64_u32 v[21:22], null, s7, v21, v[1:2]
	ds_load_b128 v[0:3], v29 offset:96
	ds_load_b128 v[4:7], v29 offset:112
	v_lshlrev_b64_e32 v[22:23], 4, v[13:14]
	v_lshlrev_b64_e32 v[24:25], 4, v[15:16]
	ds_load_b128 v[8:11], v29 offset:128
	ds_load_b128 v[12:15], v29 offset:144
	v_mov_b32_e32 v18, v21
	v_add_co_u32 v21, vcc_lo, v30, v22
	s_wait_alu 0xfffd
	v_add_co_ci_u32_e32 v22, vcc_lo, v31, v23, vcc_lo
	s_delay_alu instid0(VALU_DEP_3) | instskip(SKIP_3) | instid1(VALU_DEP_3)
	v_lshlrev_b64_e32 v[16:17], 4, v[17:18]
	v_add_co_u32 v23, vcc_lo, v30, v24
	s_wait_alu 0xfffd
	v_add_co_ci_u32_e32 v24, vcc_lo, v31, v25, vcc_lo
	v_add_co_u32 v16, vcc_lo, v30, v16
	s_wait_alu 0xfffd
	v_add_co_ci_u32_e32 v17, vcc_lo, v31, v17, vcc_lo
	s_wait_dscnt 0x3
	global_store_b128 v[19:20], v[0:3], off
	s_wait_dscnt 0x2
	global_store_b128 v[21:22], v[4:7], off
	;; [unrolled: 2-line block ×4, first 2 shown]
	s_nop 0
	s_sendmsg sendmsg(MSG_DEALLOC_VGPRS)
	s_endpgm
	.section	.rodata,"a",@progbits
	.p2align	6, 0x0
	.amdhsa_kernel fft_rtc_back_len100_factors_10_10_wgs_100_tpt_10_dp_op_CI_CI_sbcr_dirReg
		.amdhsa_group_segment_fixed_size 0
		.amdhsa_private_segment_fixed_size 0
		.amdhsa_kernarg_size 104
		.amdhsa_user_sgpr_count 2
		.amdhsa_user_sgpr_dispatch_ptr 0
		.amdhsa_user_sgpr_queue_ptr 0
		.amdhsa_user_sgpr_kernarg_segment_ptr 1
		.amdhsa_user_sgpr_dispatch_id 0
		.amdhsa_user_sgpr_private_segment_size 0
		.amdhsa_wavefront_size32 1
		.amdhsa_uses_dynamic_stack 0
		.amdhsa_enable_private_segment 0
		.amdhsa_system_sgpr_workgroup_id_x 1
		.amdhsa_system_sgpr_workgroup_id_y 0
		.amdhsa_system_sgpr_workgroup_id_z 0
		.amdhsa_system_sgpr_workgroup_info 0
		.amdhsa_system_vgpr_workitem_id 0
		.amdhsa_next_free_vgpr 92
		.amdhsa_next_free_sgpr 59
		.amdhsa_reserve_vcc 1
		.amdhsa_float_round_mode_32 0
		.amdhsa_float_round_mode_16_64 0
		.amdhsa_float_denorm_mode_32 3
		.amdhsa_float_denorm_mode_16_64 3
		.amdhsa_fp16_overflow 0
		.amdhsa_workgroup_processor_mode 1
		.amdhsa_memory_ordered 1
		.amdhsa_forward_progress 0
		.amdhsa_round_robin_scheduling 0
		.amdhsa_exception_fp_ieee_invalid_op 0
		.amdhsa_exception_fp_denorm_src 0
		.amdhsa_exception_fp_ieee_div_zero 0
		.amdhsa_exception_fp_ieee_overflow 0
		.amdhsa_exception_fp_ieee_underflow 0
		.amdhsa_exception_fp_ieee_inexact 0
		.amdhsa_exception_int_div_zero 0
	.end_amdhsa_kernel
	.text
.Lfunc_end0:
	.size	fft_rtc_back_len100_factors_10_10_wgs_100_tpt_10_dp_op_CI_CI_sbcr_dirReg, .Lfunc_end0-fft_rtc_back_len100_factors_10_10_wgs_100_tpt_10_dp_op_CI_CI_sbcr_dirReg
                                        ; -- End function
	.section	.AMDGPU.csdata,"",@progbits
; Kernel info:
; codeLenInByte = 6620
; NumSgprs: 61
; NumVgprs: 92
; ScratchSize: 0
; MemoryBound: 1
; FloatMode: 240
; IeeeMode: 1
; LDSByteSize: 0 bytes/workgroup (compile time only)
; SGPRBlocks: 7
; VGPRBlocks: 11
; NumSGPRsForWavesPerEU: 61
; NumVGPRsForWavesPerEU: 92
; Occupancy: 16
; WaveLimiterHint : 1
; COMPUTE_PGM_RSRC2:SCRATCH_EN: 0
; COMPUTE_PGM_RSRC2:USER_SGPR: 2
; COMPUTE_PGM_RSRC2:TRAP_HANDLER: 0
; COMPUTE_PGM_RSRC2:TGID_X_EN: 1
; COMPUTE_PGM_RSRC2:TGID_Y_EN: 0
; COMPUTE_PGM_RSRC2:TGID_Z_EN: 0
; COMPUTE_PGM_RSRC2:TIDIG_COMP_CNT: 0
	.text
	.p2alignl 7, 3214868480
	.fill 96, 4, 3214868480
	.type	__hip_cuid_c2af4cd26c5dc7e,@object ; @__hip_cuid_c2af4cd26c5dc7e
	.section	.bss,"aw",@nobits
	.globl	__hip_cuid_c2af4cd26c5dc7e
__hip_cuid_c2af4cd26c5dc7e:
	.byte	0                               ; 0x0
	.size	__hip_cuid_c2af4cd26c5dc7e, 1

	.ident	"AMD clang version 19.0.0git (https://github.com/RadeonOpenCompute/llvm-project roc-6.4.0 25133 c7fe45cf4b819c5991fe208aaa96edf142730f1d)"
	.section	".note.GNU-stack","",@progbits
	.addrsig
	.addrsig_sym __hip_cuid_c2af4cd26c5dc7e
	.amdgpu_metadata
---
amdhsa.kernels:
  - .args:
      - .actual_access:  read_only
        .address_space:  global
        .offset:         0
        .size:           8
        .value_kind:     global_buffer
      - .offset:         8
        .size:           8
        .value_kind:     by_value
      - .actual_access:  read_only
        .address_space:  global
        .offset:         16
        .size:           8
        .value_kind:     global_buffer
      - .actual_access:  read_only
        .address_space:  global
        .offset:         24
        .size:           8
        .value_kind:     global_buffer
      - .actual_access:  read_only
        .address_space:  global
        .offset:         32
        .size:           8
        .value_kind:     global_buffer
      - .offset:         40
        .size:           8
        .value_kind:     by_value
      - .actual_access:  read_only
        .address_space:  global
        .offset:         48
        .size:           8
        .value_kind:     global_buffer
      - .actual_access:  read_only
        .address_space:  global
        .offset:         56
        .size:           8
        .value_kind:     global_buffer
      - .offset:         64
        .size:           4
        .value_kind:     by_value
      - .actual_access:  read_only
        .address_space:  global
        .offset:         72
        .size:           8
        .value_kind:     global_buffer
      - .actual_access:  read_only
        .address_space:  global
        .offset:         80
        .size:           8
        .value_kind:     global_buffer
      - .actual_access:  read_only
        .address_space:  global
        .offset:         88
        .size:           8
        .value_kind:     global_buffer
      - .actual_access:  write_only
        .address_space:  global
        .offset:         96
        .size:           8
        .value_kind:     global_buffer
    .group_segment_fixed_size: 0
    .kernarg_segment_align: 8
    .kernarg_segment_size: 104
    .language:       OpenCL C
    .language_version:
      - 2
      - 0
    .max_flat_workgroup_size: 100
    .name:           fft_rtc_back_len100_factors_10_10_wgs_100_tpt_10_dp_op_CI_CI_sbcr_dirReg
    .private_segment_fixed_size: 0
    .sgpr_count:     61
    .sgpr_spill_count: 0
    .symbol:         fft_rtc_back_len100_factors_10_10_wgs_100_tpt_10_dp_op_CI_CI_sbcr_dirReg.kd
    .uniform_work_group_size: 1
    .uses_dynamic_stack: false
    .vgpr_count:     92
    .vgpr_spill_count: 0
    .wavefront_size: 32
    .workgroup_processor_mode: 1
amdhsa.target:   amdgcn-amd-amdhsa--gfx1201
amdhsa.version:
  - 1
  - 2
...

	.end_amdgpu_metadata
